;; amdgpu-corpus repo=ROCm/rocFFT kind=compiled arch=gfx906 opt=O3
	.text
	.amdgcn_target "amdgcn-amd-amdhsa--gfx906"
	.amdhsa_code_object_version 6
	.protected	fft_rtc_back_len810_factors_3_10_3_3_3_wgs_81_tpt_81_halfLds_dp_op_CI_CI_unitstride_sbrr_dirReg ; -- Begin function fft_rtc_back_len810_factors_3_10_3_3_3_wgs_81_tpt_81_halfLds_dp_op_CI_CI_unitstride_sbrr_dirReg
	.globl	fft_rtc_back_len810_factors_3_10_3_3_3_wgs_81_tpt_81_halfLds_dp_op_CI_CI_unitstride_sbrr_dirReg
	.p2align	8
	.type	fft_rtc_back_len810_factors_3_10_3_3_3_wgs_81_tpt_81_halfLds_dp_op_CI_CI_unitstride_sbrr_dirReg,@function
fft_rtc_back_len810_factors_3_10_3_3_3_wgs_81_tpt_81_halfLds_dp_op_CI_CI_unitstride_sbrr_dirReg: ; @fft_rtc_back_len810_factors_3_10_3_3_3_wgs_81_tpt_81_halfLds_dp_op_CI_CI_unitstride_sbrr_dirReg
; %bb.0:
	s_load_dwordx4 s[12:15], s[4:5], 0x58
	s_load_dwordx4 s[8:11], s[4:5], 0x0
	;; [unrolled: 1-line block ×3, first 2 shown]
	v_mul_u32_u24_e32 v1, 0x32a, v0
	v_add_u32_sdwa v6, s6, v1 dst_sel:DWORD dst_unused:UNUSED_PAD src0_sel:DWORD src1_sel:WORD_1
	v_mov_b32_e32 v1, 0
	s_waitcnt lgkmcnt(0)
	v_cmp_lt_u64_e64 s[0:1], s[10:11], 2
	v_mov_b32_e32 v4, 0
	v_mov_b32_e32 v7, v1
	s_and_b64 vcc, exec, s[0:1]
	v_mov_b32_e32 v5, 0
	s_cbranch_vccnz .LBB0_8
; %bb.1:
	s_load_dwordx2 s[0:1], s[4:5], 0x10
	s_add_u32 s2, s18, 8
	s_addc_u32 s3, s19, 0
	s_add_u32 s6, s16, 8
	v_mov_b32_e32 v4, 0
	s_addc_u32 s7, s17, 0
	v_mov_b32_e32 v5, 0
	s_waitcnt lgkmcnt(0)
	s_add_u32 s20, s0, 8
	v_mov_b32_e32 v51, v5
	s_addc_u32 s21, s1, 0
	s_mov_b64 s[22:23], 1
	v_mov_b32_e32 v50, v4
.LBB0_2:                                ; =>This Inner Loop Header: Depth=1
	s_load_dwordx2 s[24:25], s[20:21], 0x0
                                        ; implicit-def: $vgpr52_vgpr53
	s_waitcnt lgkmcnt(0)
	v_or_b32_e32 v2, s25, v7
	v_cmp_ne_u64_e32 vcc, 0, v[1:2]
	s_and_saveexec_b64 s[0:1], vcc
	s_xor_b64 s[26:27], exec, s[0:1]
	s_cbranch_execz .LBB0_4
; %bb.3:                                ;   in Loop: Header=BB0_2 Depth=1
	v_cvt_f32_u32_e32 v2, s24
	v_cvt_f32_u32_e32 v3, s25
	s_sub_u32 s0, 0, s24
	s_subb_u32 s1, 0, s25
	v_mac_f32_e32 v2, 0x4f800000, v3
	v_rcp_f32_e32 v2, v2
	v_mul_f32_e32 v2, 0x5f7ffffc, v2
	v_mul_f32_e32 v3, 0x2f800000, v2
	v_trunc_f32_e32 v3, v3
	v_mac_f32_e32 v2, 0xcf800000, v3
	v_cvt_u32_f32_e32 v3, v3
	v_cvt_u32_f32_e32 v2, v2
	v_mul_lo_u32 v8, s0, v3
	v_mul_hi_u32 v9, s0, v2
	v_mul_lo_u32 v11, s1, v2
	v_mul_lo_u32 v10, s0, v2
	v_add_u32_e32 v8, v9, v8
	v_add_u32_e32 v8, v8, v11
	v_mul_hi_u32 v9, v2, v10
	v_mul_lo_u32 v11, v2, v8
	v_mul_hi_u32 v13, v2, v8
	v_mul_hi_u32 v12, v3, v10
	v_mul_lo_u32 v10, v3, v10
	v_mul_hi_u32 v14, v3, v8
	v_add_co_u32_e32 v9, vcc, v9, v11
	v_addc_co_u32_e32 v11, vcc, 0, v13, vcc
	v_mul_lo_u32 v8, v3, v8
	v_add_co_u32_e32 v9, vcc, v9, v10
	v_addc_co_u32_e32 v9, vcc, v11, v12, vcc
	v_addc_co_u32_e32 v10, vcc, 0, v14, vcc
	v_add_co_u32_e32 v8, vcc, v9, v8
	v_addc_co_u32_e32 v9, vcc, 0, v10, vcc
	v_add_co_u32_e32 v2, vcc, v2, v8
	v_addc_co_u32_e32 v3, vcc, v3, v9, vcc
	v_mul_lo_u32 v8, s0, v3
	v_mul_hi_u32 v9, s0, v2
	v_mul_lo_u32 v10, s1, v2
	v_mul_lo_u32 v11, s0, v2
	v_add_u32_e32 v8, v9, v8
	v_add_u32_e32 v8, v8, v10
	v_mul_lo_u32 v12, v2, v8
	v_mul_hi_u32 v13, v2, v11
	v_mul_hi_u32 v14, v2, v8
	v_mul_hi_u32 v10, v3, v11
	v_mul_lo_u32 v11, v3, v11
	v_mul_hi_u32 v9, v3, v8
	v_add_co_u32_e32 v12, vcc, v13, v12
	v_addc_co_u32_e32 v13, vcc, 0, v14, vcc
	v_mul_lo_u32 v8, v3, v8
	v_add_co_u32_e32 v11, vcc, v12, v11
	v_addc_co_u32_e32 v10, vcc, v13, v10, vcc
	v_addc_co_u32_e32 v9, vcc, 0, v9, vcc
	v_add_co_u32_e32 v8, vcc, v10, v8
	v_addc_co_u32_e32 v9, vcc, 0, v9, vcc
	v_add_co_u32_e32 v8, vcc, v2, v8
	v_addc_co_u32_e32 v9, vcc, v3, v9, vcc
	v_mad_u64_u32 v[2:3], s[0:1], v6, v9, 0
	v_mul_hi_u32 v10, v6, v8
	v_add_co_u32_e32 v10, vcc, v10, v2
	v_addc_co_u32_e32 v11, vcc, 0, v3, vcc
	v_mad_u64_u32 v[2:3], s[0:1], v7, v8, 0
	v_mad_u64_u32 v[8:9], s[0:1], v7, v9, 0
	v_add_co_u32_e32 v2, vcc, v10, v2
	v_addc_co_u32_e32 v2, vcc, v11, v3, vcc
	v_addc_co_u32_e32 v3, vcc, 0, v9, vcc
	v_add_co_u32_e32 v8, vcc, v2, v8
	v_addc_co_u32_e32 v9, vcc, 0, v3, vcc
	v_mul_lo_u32 v10, s25, v8
	v_mul_lo_u32 v11, s24, v9
	v_mad_u64_u32 v[2:3], s[0:1], s24, v8, 0
	v_add3_u32 v3, v3, v11, v10
	v_sub_u32_e32 v10, v7, v3
	v_mov_b32_e32 v11, s25
	v_sub_co_u32_e32 v2, vcc, v6, v2
	v_subb_co_u32_e64 v10, s[0:1], v10, v11, vcc
	v_subrev_co_u32_e64 v11, s[0:1], s24, v2
	v_subbrev_co_u32_e64 v10, s[0:1], 0, v10, s[0:1]
	v_cmp_le_u32_e64 s[0:1], s25, v10
	v_cndmask_b32_e64 v12, 0, -1, s[0:1]
	v_cmp_le_u32_e64 s[0:1], s24, v11
	v_cndmask_b32_e64 v11, 0, -1, s[0:1]
	v_cmp_eq_u32_e64 s[0:1], s25, v10
	v_cndmask_b32_e64 v10, v12, v11, s[0:1]
	v_add_co_u32_e64 v11, s[0:1], 2, v8
	v_addc_co_u32_e64 v12, s[0:1], 0, v9, s[0:1]
	v_add_co_u32_e64 v13, s[0:1], 1, v8
	v_addc_co_u32_e64 v14, s[0:1], 0, v9, s[0:1]
	v_subb_co_u32_e32 v3, vcc, v7, v3, vcc
	v_cmp_ne_u32_e64 s[0:1], 0, v10
	v_cmp_le_u32_e32 vcc, s25, v3
	v_cndmask_b32_e64 v10, v14, v12, s[0:1]
	v_cndmask_b32_e64 v12, 0, -1, vcc
	v_cmp_le_u32_e32 vcc, s24, v2
	v_cndmask_b32_e64 v2, 0, -1, vcc
	v_cmp_eq_u32_e32 vcc, s25, v3
	v_cndmask_b32_e32 v2, v12, v2, vcc
	v_cmp_ne_u32_e32 vcc, 0, v2
	v_cndmask_b32_e64 v2, v13, v11, s[0:1]
	v_cndmask_b32_e32 v53, v9, v10, vcc
	v_cndmask_b32_e32 v52, v8, v2, vcc
.LBB0_4:                                ;   in Loop: Header=BB0_2 Depth=1
	s_andn2_saveexec_b64 s[0:1], s[26:27]
	s_cbranch_execz .LBB0_6
; %bb.5:                                ;   in Loop: Header=BB0_2 Depth=1
	v_cvt_f32_u32_e32 v2, s24
	s_sub_i32 s26, 0, s24
	v_mov_b32_e32 v53, v1
	v_rcp_iflag_f32_e32 v2, v2
	v_mul_f32_e32 v2, 0x4f7ffffe, v2
	v_cvt_u32_f32_e32 v2, v2
	v_mul_lo_u32 v3, s26, v2
	v_mul_hi_u32 v3, v2, v3
	v_add_u32_e32 v2, v2, v3
	v_mul_hi_u32 v2, v6, v2
	v_mul_lo_u32 v3, v2, s24
	v_add_u32_e32 v8, 1, v2
	v_sub_u32_e32 v3, v6, v3
	v_subrev_u32_e32 v9, s24, v3
	v_cmp_le_u32_e32 vcc, s24, v3
	v_cndmask_b32_e32 v3, v3, v9, vcc
	v_cndmask_b32_e32 v2, v2, v8, vcc
	v_add_u32_e32 v8, 1, v2
	v_cmp_le_u32_e32 vcc, s24, v3
	v_cndmask_b32_e32 v52, v2, v8, vcc
.LBB0_6:                                ;   in Loop: Header=BB0_2 Depth=1
	s_or_b64 exec, exec, s[0:1]
	v_mul_lo_u32 v8, v53, s24
	v_mul_lo_u32 v9, v52, s25
	v_mad_u64_u32 v[2:3], s[0:1], v52, s24, 0
	s_load_dwordx2 s[0:1], s[6:7], 0x0
	s_load_dwordx2 s[24:25], s[2:3], 0x0
	v_add3_u32 v3, v3, v9, v8
	v_sub_co_u32_e32 v2, vcc, v6, v2
	v_subb_co_u32_e32 v3, vcc, v7, v3, vcc
	s_waitcnt lgkmcnt(0)
	v_mul_lo_u32 v6, s0, v3
	v_mul_lo_u32 v7, s1, v2
	v_mad_u64_u32 v[4:5], s[0:1], s0, v2, v[4:5]
	v_mul_lo_u32 v3, s24, v3
	v_mul_lo_u32 v8, s25, v2
	v_mad_u64_u32 v[50:51], s[0:1], s24, v2, v[50:51]
	s_add_u32 s22, s22, 1
	s_addc_u32 s23, s23, 0
	s_add_u32 s2, s2, 8
	v_add3_u32 v51, v8, v51, v3
	s_addc_u32 s3, s3, 0
	v_mov_b32_e32 v2, s10
	s_add_u32 s6, s6, 8
	v_mov_b32_e32 v3, s11
	s_addc_u32 s7, s7, 0
	v_cmp_ge_u64_e32 vcc, s[22:23], v[2:3]
	s_add_u32 s20, s20, 8
	v_add3_u32 v5, v7, v5, v6
	s_addc_u32 s21, s21, 0
	s_cbranch_vccnz .LBB0_9
; %bb.7:                                ;   in Loop: Header=BB0_2 Depth=1
	v_mov_b32_e32 v6, v52
	v_mov_b32_e32 v7, v53
	s_branch .LBB0_2
.LBB0_8:
	v_mov_b32_e32 v51, v5
	v_mov_b32_e32 v53, v7
	;; [unrolled: 1-line block ×4, first 2 shown]
.LBB0_9:
	s_load_dwordx2 s[2:3], s[4:5], 0x28
	s_lshl_b64 s[6:7], s[10:11], 3
	s_add_u32 s4, s18, s6
	s_addc_u32 s5, s19, s7
                                        ; implicit-def: $vgpr76
	s_waitcnt lgkmcnt(0)
	v_cmp_gt_u64_e64 s[0:1], s[2:3], v[52:53]
	v_cmp_le_u64_e32 vcc, s[2:3], v[52:53]
	s_and_saveexec_b64 s[2:3], vcc
	s_xor_b64 s[2:3], exec, s[2:3]
; %bb.10:
	s_mov_b32 s10, 0x3291620
	v_mul_hi_u32 v1, v0, s10
                                        ; implicit-def: $vgpr4_vgpr5
	v_mul_u32_u24_e32 v1, 0x51, v1
	v_sub_u32_e32 v76, v0, v1
                                        ; implicit-def: $vgpr0
; %bb.11:
	s_or_saveexec_b64 s[2:3], s[2:3]
	s_load_dwordx2 s[4:5], s[4:5], 0x0
                                        ; implicit-def: $vgpr28_vgpr29
                                        ; implicit-def: $vgpr24_vgpr25
                                        ; implicit-def: $vgpr20_vgpr21
                                        ; implicit-def: $vgpr10_vgpr11
                                        ; implicit-def: $vgpr14_vgpr15
                                        ; implicit-def: $vgpr32_vgpr33
                                        ; implicit-def: $vgpr6_vgpr7
                                        ; implicit-def: $vgpr36_vgpr37
                                        ; implicit-def: $vgpr40_vgpr41
                                        ; implicit-def: $vgpr2_vgpr3
                                        ; implicit-def: $vgpr48_vgpr49
                                        ; implicit-def: $vgpr44_vgpr45
	s_xor_b64 exec, exec, s[2:3]
	s_cbranch_execz .LBB0_15
; %bb.12:
	s_add_u32 s6, s16, s6
	s_addc_u32 s7, s17, s7
	s_load_dwordx2 s[6:7], s[6:7], 0x0
	s_mov_b32 s10, 0x3291620
	v_mul_hi_u32 v3, v0, s10
                                        ; implicit-def: $vgpr22_vgpr23
                                        ; implicit-def: $vgpr26_vgpr27
	s_waitcnt lgkmcnt(0)
	v_mul_lo_u32 v6, s7, v52
	v_mul_lo_u32 v7, s6, v53
	v_mad_u64_u32 v[1:2], s[6:7], s6, v52, 0
	v_mul_u32_u24_e32 v3, 0x51, v3
	v_sub_u32_e32 v76, v0, v3
	v_add3_u32 v2, v2, v7, v6
	v_lshlrev_b64 v[0:1], 4, v[1:2]
	v_mov_b32_e32 v2, s13
	v_add_co_u32_e32 v3, vcc, s12, v0
	v_addc_co_u32_e32 v2, vcc, v2, v1, vcc
	v_lshlrev_b64 v[0:1], 4, v[4:5]
	s_movk_i32 s6, 0x1000
	v_add_co_u32_e32 v0, vcc, v3, v0
	v_addc_co_u32_e32 v1, vcc, v2, v1, vcc
	v_lshlrev_b32_e32 v2, 4, v76
	v_add_co_u32_e32 v16, vcc, v0, v2
	v_addc_co_u32_e32 v17, vcc, 0, v1, vcc
	v_add_co_u32_e32 v18, vcc, s6, v16
	v_addc_co_u32_e32 v19, vcc, 0, v17, vcc
	s_movk_i32 s6, 0x2000
	v_add_co_u32_e32 v20, vcc, s6, v16
	v_addc_co_u32_e32 v21, vcc, 0, v17, vcc
	global_load_dwordx4 v[0:3], v[20:21], off offset:448
	global_load_dwordx4 v[4:7], v[20:21], off offset:1744
	;; [unrolled: 1-line block ×5, first 2 shown]
	global_load_dwordx4 v[42:45], v[16:17], off
	global_load_dwordx4 v[38:41], v[16:17], off offset:1296
	global_load_dwordx4 v[46:49], v[18:19], off offset:224
	;; [unrolled: 1-line block ×3, first 2 shown]
	v_cmp_gt_u32_e32 vcc, 27, v76
                                        ; implicit-def: $vgpr18_vgpr19
	s_and_saveexec_b64 s[6:7], vcc
	s_cbranch_execz .LBB0_14
; %bb.13:
	v_add_co_u32_e32 v26, vcc, 0x2000, v16
	v_addc_co_u32_e32 v27, vcc, 0, v17, vcc
	global_load_dwordx4 v[18:21], v[16:17], off offset:3888
	global_load_dwordx4 v[22:25], v[26:27], off offset:16
	v_add_co_u32_e32 v16, vcc, 0x3000, v16
	v_addc_co_u32_e32 v17, vcc, 0, v17, vcc
	global_load_dwordx4 v[26:29], v[16:17], off offset:240
.LBB0_14:
	s_or_b64 exec, exec, s[6:7]
.LBB0_15:
	s_or_b64 exec, exec, s[2:3]
	s_waitcnt vmcnt(1)
	v_add_f64 v[16:17], v[0:1], v[46:47]
	v_add_f64 v[54:55], v[4:5], v[34:35]
	;; [unrolled: 1-line block ×3, first 2 shown]
	s_waitcnt vmcnt(0)
	v_add_f64 v[64:65], v[26:27], v[22:23]
	v_add_f64 v[58:59], v[48:49], -v[2:3]
	v_add_f64 v[60:61], v[34:35], v[38:39]
	v_add_f64 v[62:63], v[36:37], -v[6:7]
	v_add_f64 v[70:71], v[12:13], v[30:31]
	v_fma_f64 v[16:17], v[16:17], -0.5, v[42:43]
	v_add_f64 v[42:43], v[8:9], v[12:13]
	v_fma_f64 v[38:39], v[54:55], -0.5, v[38:39]
	v_add_f64 v[72:73], v[14:15], -v[10:11]
	v_fma_f64 v[64:65], v[64:65], -0.5, v[18:19]
	v_add_f64 v[74:75], v[24:25], -v[28:29]
	s_mov_b32 s6, 0xe8584caa
	s_mov_b32 s7, 0xbfebb67a
	;; [unrolled: 1-line block ×3, first 2 shown]
	v_fma_f64 v[30:31], v[42:43], -0.5, v[30:31]
	s_mov_b32 s10, s6
	v_add_f64 v[55:56], v[0:1], v[56:57]
	v_fma_f64 v[66:67], v[58:59], s[6:7], v[16:17]
	v_fma_f64 v[68:69], v[62:63], s[6:7], v[38:39]
	;; [unrolled: 1-line block ×4, first 2 shown]
	v_add_f64 v[62:63], v[8:9], v[70:71]
	v_fma_f64 v[70:71], v[72:73], s[6:7], v[30:31]
	v_fma_f64 v[42:43], v[74:75], s[6:7], v[64:65]
	;; [unrolled: 1-line block ×3, first 2 shown]
	v_add_f64 v[60:61], v[4:5], v[60:61]
	v_fma_f64 v[72:73], v[72:73], s[10:11], v[30:31]
	v_mad_u32_u24 v54, v76, 24, 0
	v_add_u32_e32 v30, 0xf30, v54
	v_cmp_gt_u32_e64 s[2:3], 27, v76
	ds_write2_b64 v54, v[55:56], v[66:67] offset1:1
	ds_write2_b64 v54, v[60:61], v[68:69] offset0:243 offset1:244
	ds_write2_b64 v54, v[16:17], v[57:58] offset0:2 offset1:245
	ds_write2_b64 v30, v[62:63], v[70:71] offset1:1
	ds_write_b64 v54, v[72:73] offset:3904
	s_and_saveexec_b64 s[12:13], s[2:3]
	s_cbranch_execz .LBB0_17
; %bb.16:
	v_add_f64 v[16:17], v[22:23], v[18:19]
	v_add_u32_e32 v18, 0x16c8, v54
	v_add_f64 v[16:17], v[26:27], v[16:17]
	ds_write2_b64 v18, v[16:17], v[42:43] offset1:1
	ds_write_b64 v54, v[38:39] offset:5848
.LBB0_17:
	s_or_b64 exec, exec, s[12:13]
	v_add_f64 v[16:17], v[2:3], v[48:49]
	v_add_f64 v[18:19], v[48:49], v[44:45]
	;; [unrolled: 1-line block ×3, first 2 shown]
	v_add_f64 v[0:1], v[46:47], -v[0:1]
	v_add_f64 v[46:47], v[6:7], v[36:37]
	v_add_f64 v[4:5], v[34:35], -v[4:5]
	v_add_f64 v[34:35], v[10:11], v[14:15]
	v_add_f64 v[36:37], v[36:37], v[40:41]
	v_fma_f64 v[16:17], v[16:17], -0.5, v[44:45]
	v_add_f64 v[22:23], v[22:23], -v[26:27]
	v_add_f64 v[26:27], v[2:3], v[18:19]
	v_fma_f64 v[18:19], v[48:49], -0.5, v[20:21]
	v_add_f64 v[8:9], v[12:13], -v[8:9]
	v_fma_f64 v[12:13], v[46:47], -0.5, v[40:41]
	v_add_f64 v[14:15], v[14:15], v[32:33]
	v_fma_f64 v[2:3], v[34:35], -0.5, v[32:33]
	v_fma_f64 v[31:32], v[0:1], s[10:11], v[16:17]
	v_fma_f64 v[40:41], v[0:1], s[6:7], v[16:17]
	v_add_f64 v[44:45], v[6:7], v[36:37]
	v_fma_f64 v[36:37], v[22:23], s[10:11], v[18:19]
	v_fma_f64 v[34:35], v[22:23], s[6:7], v[18:19]
	v_lshlrev_b32_e32 v0, 4, v76
	v_fma_f64 v[48:49], v[4:5], s[10:11], v[12:13]
	v_sub_u32_e32 v77, v54, v0
	v_fma_f64 v[55:56], v[4:5], s[6:7], v[12:13]
	v_add_u32_e32 v46, 0x800, v77
	v_add_u32_e32 v22, 0xc00, v77
	;; [unrolled: 1-line block ×3, first 2 shown]
	v_add_f64 v[57:58], v[10:11], v[14:15]
	v_fma_f64 v[59:60], v[8:9], s[10:11], v[2:3]
	v_fma_f64 v[61:62], v[8:9], s[6:7], v[2:3]
	s_waitcnt lgkmcnt(0)
	s_barrier
	ds_read2_b64 v[0:3], v77 offset1:81
	ds_read2_b64 v[16:19], v77 offset0:162 offset1:243
	ds_read2_b64 v[12:15], v46 offset0:68 offset1:149
	;; [unrolled: 1-line block ×4, first 2 shown]
	s_waitcnt lgkmcnt(0)
	s_barrier
	ds_write2_b64 v54, v[26:27], v[31:32] offset1:1
	ds_write2_b64 v54, v[44:45], v[48:49] offset0:243 offset1:244
	ds_write2_b64 v54, v[40:41], v[55:56] offset0:2 offset1:245
	ds_write2_b64 v30, v[57:58], v[59:60] offset1:1
	ds_write_b64 v54, v[61:62] offset:3904
	s_and_saveexec_b64 s[6:7], s[2:3]
	s_cbranch_execz .LBB0_19
; %bb.18:
	v_add_f64 v[20:21], v[24:25], v[20:21]
	v_add_u32_e32 v23, 0x16c8, v54
	v_add_f64 v[20:21], v[28:29], v[20:21]
	ds_write2_b64 v23, v[20:21], v[36:37] offset1:1
	ds_write_b64 v54, v[34:35] offset:5848
.LBB0_19:
	s_or_b64 exec, exec, s[6:7]
	s_movk_i32 s6, 0xab
	v_mul_lo_u16_sdwa v20, v76, s6 dst_sel:DWORD dst_unused:UNUSED_PAD src0_sel:BYTE_0 src1_sel:DWORD
	v_lshrrev_b16_e32 v24, 9, v20
	v_mul_lo_u16_e32 v20, 3, v24
	v_sub_u16_e32 v25, v76, v20
	v_mov_b32_e32 v20, 9
	v_mul_u32_u24_sdwa v20, v25, v20 dst_sel:DWORD dst_unused:UNUSED_PAD src0_sel:BYTE_0 src1_sel:DWORD
	v_lshlrev_b32_e32 v20, 4, v20
	s_waitcnt lgkmcnt(0)
	s_barrier
	global_load_dwordx4 v[26:29], v20, s[8:9] offset:16
	global_load_dwordx4 v[30:33], v20, s[8:9] offset:32
	;; [unrolled: 1-line block ×8, first 2 shown]
	global_load_dwordx4 v[82:85], v20, s[8:9]
	ds_read2_b64 v[86:89], v77 offset0:162 offset1:243
	ds_read2_b64 v[90:93], v46 offset0:68 offset1:149
	;; [unrolled: 1-line block ×4, first 2 shown]
	ds_read2_b64 v[20:23], v77 offset1:81
	s_mov_b32 s12, 0x134454ff
	s_mov_b32 s13, 0xbfee6f0e
	;; [unrolled: 1-line block ×11, first 2 shown]
	v_mul_u32_u24_e32 v24, 0xf0, v24
	s_mov_b32 s21, 0x3fe9e377
	s_mov_b32 s23, 0xbfd3c6ef
	;; [unrolled: 1-line block ×3, first 2 shown]
	s_waitcnt vmcnt(0) lgkmcnt(0)
	s_barrier
	v_mul_f64 v[40:41], v[86:87], v[28:29]
	v_mul_f64 v[28:29], v[16:17], v[28:29]
	;; [unrolled: 1-line block ×18, first 2 shown]
	v_fma_f64 v[44:45], v[16:17], v[26:27], v[40:41]
	v_fma_f64 v[32:33], v[86:87], v[26:27], -v[28:29]
	v_fma_f64 v[16:17], v[18:19], v[30:31], v[48:49]
	v_fma_f64 v[30:31], v[88:89], v[30:31], -v[54:55]
	v_fma_f64 v[54:55], v[12:13], v[56:57], v[102:103]
	v_fma_f64 v[28:29], v[90:91], v[56:57], -v[58:59]
	v_fma_f64 v[18:19], v[14:15], v[60:61], v[104:105]
	v_fma_f64 v[26:27], v[92:93], v[60:61], -v[62:63]
	v_fma_f64 v[56:57], v[8:9], v[64:65], v[106:107]
	v_fma_f64 v[40:41], v[10:11], v[68:69], v[108:109]
	;; [unrolled: 1-line block ×3, first 2 shown]
	v_fma_f64 v[12:13], v[96:97], v[68:69], -v[70:71]
	v_fma_f64 v[8:9], v[100:101], v[78:79], -v[80:81]
	v_fma_f64 v[2:3], v[2:3], v[82:83], v[114:115]
	v_fma_f64 v[4:5], v[6:7], v[78:79], v[112:113]
	v_fma_f64 v[14:15], v[94:95], v[64:65], -v[66:67]
	v_fma_f64 v[10:11], v[98:99], v[72:73], -v[74:75]
	;; [unrolled: 1-line block ×3, first 2 shown]
	v_add_f64 v[6:7], v[54:55], v[56:57]
	v_add_f64 v[22:23], v[44:45], v[58:59]
	v_add_f64 v[62:63], v[44:45], -v[54:55]
	v_add_f64 v[64:65], v[58:59], -v[56:57]
	;; [unrolled: 1-line block ×4, first 2 shown]
	v_add_f64 v[74:75], v[2:3], v[16:17]
	v_add_f64 v[78:79], v[18:19], v[40:41]
	;; [unrolled: 1-line block ×6, first 2 shown]
	v_add_f64 v[66:67], v[16:17], -v[18:19]
	v_add_f64 v[68:69], v[4:5], -v[40:41]
	;; [unrolled: 1-line block ×9, first 2 shown]
	v_fma_f64 v[6:7], v[6:7], -0.5, v[0:1]
	v_fma_f64 v[0:1], v[22:23], -0.5, v[0:1]
	v_add_f64 v[22:23], v[62:63], v[64:65]
	v_add_f64 v[64:65], v[70:71], v[72:73]
	;; [unrolled: 1-line block ×3, first 2 shown]
	v_fma_f64 v[62:63], v[78:79], -0.5, v[2:3]
	v_fma_f64 v[72:73], v[104:105], -0.5, v[48:49]
	v_fma_f64 v[74:75], v[106:107], -0.5, v[48:49]
	v_add_f64 v[90:91], v[28:29], -v[14:15]
	v_add_f64 v[100:101], v[26:27], -v[12:13]
	v_fma_f64 v[2:3], v[86:87], -0.5, v[2:3]
	v_add_f64 v[98:99], v[32:33], -v[10:11]
	v_add_f64 v[108:109], v[66:67], v[68:69]
	v_add_f64 v[70:71], v[80:81], v[82:83]
	;; [unrolled: 1-line block ×3, first 2 shown]
	v_fma_f64 v[82:83], v[102:103], s[12:13], v[62:63]
	v_fma_f64 v[84:85], v[102:103], s[6:7], v[62:63]
	;; [unrolled: 1-line block ×5, first 2 shown]
	v_add_f64 v[92:93], v[26:27], -v[30:31]
	v_add_f64 v[94:95], v[12:13], -v[8:9]
	v_add_f64 v[18:19], v[18:19], v[40:41]
	v_fma_f64 v[40:41], v[90:91], s[6:7], v[0:1]
	v_fma_f64 v[80:81], v[100:101], s[6:7], v[2:3]
	;; [unrolled: 1-line block ×7, first 2 shown]
	v_add_f64 v[68:69], v[92:93], v[94:95]
	v_fma_f64 v[2:3], v[100:101], s[12:13], v[2:3]
	v_fma_f64 v[0:1], v[90:91], s[12:13], v[0:1]
	v_add_f64 v[4:5], v[18:19], v[4:5]
	v_fma_f64 v[18:19], v[98:99], s[16:17], v[40:41]
	v_fma_f64 v[40:41], v[102:103], s[16:17], v[80:81]
	;; [unrolled: 1-line block ×4, first 2 shown]
	v_add_f64 v[60:61], v[60:61], v[54:55]
	v_fma_f64 v[78:79], v[100:101], s[16:17], v[82:83]
	v_fma_f64 v[74:75], v[64:65], s[18:19], v[72:73]
	;; [unrolled: 1-line block ×6, first 2 shown]
	v_mov_b32_e32 v68, 3
	v_fma_f64 v[0:1], v[98:99], s[10:11], v[0:1]
	v_fma_f64 v[16:17], v[100:101], s[10:11], v[84:85]
	v_lshlrev_b32_sdwa v25, v68, v25 dst_sel:DWORD dst_unused:UNUSED_PAD src0_sel:DWORD src1_sel:BYTE_0
	v_fma_f64 v[68:69], v[64:65], s[18:19], v[80:81]
	v_add_f64 v[82:83], v[60:61], v[56:57]
	v_fma_f64 v[60:61], v[108:109], s[18:19], v[78:79]
	v_mul_f64 v[84:85], v[74:75], s[16:17]
	v_fma_f64 v[6:7], v[90:91], s[10:11], v[6:7]
	v_fma_f64 v[64:65], v[66:67], s[18:19], v[40:41]
	;; [unrolled: 1-line block ×3, first 2 shown]
	v_mul_f64 v[2:3], v[72:73], s[12:13]
	v_mul_f64 v[40:41], v[62:63], s[12:13]
	v_fma_f64 v[18:19], v[70:71], s[18:19], v[18:19]
	v_fma_f64 v[0:1], v[70:71], s[18:19], v[0:1]
	;; [unrolled: 1-line block ×3, first 2 shown]
	v_mul_f64 v[16:17], v[68:69], s[16:17]
	v_add3_u32 v78, 0, v24, v25
	v_add_f64 v[24:25], v[82:83], v[58:59]
	v_fma_f64 v[79:80], v[22:23], s[18:19], v[86:87]
	v_fma_f64 v[81:82], v[60:61], s[20:21], v[84:85]
	;; [unrolled: 1-line block ×5, first 2 shown]
	s_mov_b32 s23, 0xbfe9e377
	s_mov_b32 s22, s20
	v_fma_f64 v[16:17], v[70:71], s[22:23], v[16:17]
	v_add_f64 v[83:84], v[24:25], v[4:5]
	v_add_f64 v[4:5], v[24:25], -v[4:5]
	v_add_f64 v[24:25], v[79:80], v[81:82]
	v_add_f64 v[79:80], v[79:80], -v[81:82]
	;; [unrolled: 2-line block ×3, first 2 shown]
	v_add_f64 v[18:19], v[0:1], v[22:23]
	v_add_f64 v[85:86], v[6:7], v[16:17]
	v_add_f64 v[0:1], v[0:1], -v[22:23]
	v_add_f64 v[40:41], v[6:7], -v[16:17]
	ds_write2_b64 v78, v[83:84], v[24:25] offset1:3
	ds_write2_b64 v78, v[81:82], v[18:19] offset0:6 offset1:9
	ds_write2_b64 v78, v[85:86], v[4:5] offset0:12 offset1:15
	;; [unrolled: 1-line block ×4, first 2 shown]
	s_waitcnt lgkmcnt(0)
	s_barrier
	v_add_u32_e32 v79, 0x400, v77
	ds_read2_b64 v[22:25], v47 offset0:28 offset1:109
	ds_read2_b64 v[16:19], v46 offset0:95 offset1:176
	ds_read_b64 v[46:47], v77 offset:5616
	ds_read2_b64 v[4:7], v77 offset1:81
	ds_read2_b64 v[0:3], v79 offset0:34 offset1:142
	s_and_saveexec_b64 s[22:23], s[2:3]
	s_cbranch_execz .LBB0_21
; %bb.20:
	ds_read_b64 v[40:41], v77 offset:1944
	ds_read_b64 v[42:43], v77 offset:4104
	;; [unrolled: 1-line block ×3, first 2 shown]
.LBB0_21:
	s_or_b64 exec, exec, s[22:23]
	v_add_f64 v[80:81], v[28:29], v[14:15]
	v_add_f64 v[82:83], v[32:33], v[10:11]
	;; [unrolled: 1-line block ×3, first 2 shown]
	v_add_f64 v[44:45], v[44:45], -v[58:59]
	v_add_f64 v[30:31], v[48:49], v[30:31]
	v_add_f64 v[54:55], v[54:55], -v[56:57]
	v_add_f64 v[56:57], v[32:33], -v[28:29]
	;; [unrolled: 1-line block ×3, first 2 shown]
	v_fma_f64 v[80:81], v[80:81], -0.5, v[20:21]
	v_fma_f64 v[20:21], v[82:83], -0.5, v[20:21]
	v_add_f64 v[32:33], v[28:29], -v[32:33]
	v_mul_f64 v[48:49], v[74:75], s[20:21]
	v_add_f64 v[28:29], v[84:85], v[28:29]
	v_add_f64 v[26:27], v[30:31], v[26:27]
	v_add_f64 v[82:83], v[14:15], -v[10:11]
	v_add_f64 v[30:31], v[56:57], v[58:59]
	v_fma_f64 v[74:75], v[44:45], s[6:7], v[80:81]
	v_fma_f64 v[80:81], v[44:45], s[12:13], v[80:81]
	;; [unrolled: 1-line block ×4, first 2 shown]
	v_add_f64 v[14:15], v[28:29], v[14:15]
	v_add_f64 v[12:13], v[26:27], v[12:13]
	v_mul_f64 v[72:73], v[72:73], s[18:19]
	v_add_f64 v[32:33], v[32:33], v[82:83]
	v_fma_f64 v[28:29], v[54:55], s[10:11], v[74:75]
	v_fma_f64 v[54:55], v[54:55], s[16:17], v[80:81]
	;; [unrolled: 1-line block ×4, first 2 shown]
	v_mul_f64 v[26:27], v[62:63], s[18:19]
	v_mul_f64 v[44:45], v[68:69], s[20:21]
	v_add_f64 v[10:11], v[14:15], v[10:11]
	v_add_f64 v[8:9], v[12:13], v[8:9]
	v_fma_f64 v[14:15], v[30:31], s[18:19], v[28:29]
	v_fma_f64 v[12:13], v[60:61], s[10:11], v[48:49]
	;; [unrolled: 1-line block ×6, first 2 shown]
	v_fma_f64 v[26:27], v[66:67], s[6:7], -v[26:27]
	v_fma_f64 v[44:45], v[70:71], s[10:11], -v[44:45]
	v_add_f64 v[48:49], v[10:11], v[8:9]
	v_add_f64 v[54:55], v[14:15], v[12:13]
	v_add_f64 v[8:9], v[10:11], -v[8:9]
	v_add_f64 v[10:11], v[14:15], -v[12:13]
	s_waitcnt lgkmcnt(0)
	v_add_f64 v[56:57], v[30:31], v[32:33]
	v_add_f64 v[58:59], v[20:21], v[26:27]
	;; [unrolled: 1-line block ×3, first 2 shown]
	v_add_f64 v[12:13], v[30:31], -v[32:33]
	v_add_f64 v[14:15], v[20:21], -v[26:27]
	;; [unrolled: 1-line block ×3, first 2 shown]
	v_add_u32_e32 v20, 0x1000, v77
	s_barrier
	ds_write2_b64 v78, v[48:49], v[54:55] offset1:3
	ds_write2_b64 v78, v[56:57], v[58:59] offset0:6 offset1:9
	ds_write2_b64 v78, v[60:61], v[8:9] offset0:12 offset1:15
	ds_write2_b64 v78, v[10:11], v[12:13] offset0:18 offset1:21
	ds_write2_b64 v78, v[14:15], v[44:45] offset0:24 offset1:27
	s_waitcnt lgkmcnt(0)
	s_barrier
	ds_read2_b64 v[12:15], v77 offset1:81
	ds_read2_b64 v[8:11], v79 offset0:34 offset1:142
	ds_read2_b64 v[30:33], v20 offset0:28 offset1:109
	v_add_u32_e32 v20, 0x800, v77
	ds_read2_b64 v[26:29], v20 offset0:95 offset1:176
	ds_read_b64 v[20:21], v77 offset:5616
	s_and_saveexec_b64 s[6:7], s[2:3]
	s_cbranch_execz .LBB0_23
; %bb.22:
	ds_read_b64 v[44:45], v77 offset:1944
	ds_read_b64 v[36:37], v77 offset:4104
	;; [unrolled: 1-line block ×3, first 2 shown]
.LBB0_23:
	s_or_b64 exec, exec, s[6:7]
	s_movk_i32 s6, 0x89
	v_mul_lo_u16_sdwa v48, v76, s6 dst_sel:DWORD dst_unused:UNUSED_PAD src0_sel:BYTE_0 src1_sel:DWORD
	v_lshrrev_b16_e32 v48, 12, v48
	v_mul_lo_u16_e32 v49, 30, v48
	v_sub_u16_e32 v49, v76, v49
	v_mov_b32_e32 v66, 5
	v_add_u32_e32 v73, 0x51, v76
	v_lshlrev_b32_sdwa v62, v66, v49 dst_sel:DWORD dst_unused:UNUSED_PAD src0_sel:DWORD src1_sel:BYTE_0
	global_load_dwordx4 v[54:57], v62, s[8:9] offset:448
	global_load_dwordx4 v[58:61], v62, s[8:9] offset:432
	v_mul_lo_u16_sdwa v62, v73, s6 dst_sel:DWORD dst_unused:UNUSED_PAD src0_sel:BYTE_0 src1_sel:DWORD
	v_lshrrev_b16_e32 v67, 12, v62
	v_mul_lo_u16_e32 v62, 30, v67
	v_sub_u16_e32 v68, v73, v62
	v_add_u32_e32 v74, 0xa2, v76
	v_lshlrev_b32_sdwa v69, v66, v68 dst_sel:DWORD dst_unused:UNUSED_PAD src0_sel:DWORD src1_sel:BYTE_0
	global_load_dwordx4 v[78:81], v69, s[8:9] offset:448
	global_load_dwordx4 v[62:65], v69, s[8:9] offset:432
	v_mul_lo_u16_sdwa v69, v74, s6 dst_sel:DWORD dst_unused:UNUSED_PAD src0_sel:BYTE_0 src1_sel:DWORD
	v_lshrrev_b16_e32 v69, 12, v69
	v_mul_lo_u16_e32 v70, 30, v69
	v_sub_u16_e32 v70, v74, v70
	v_add_u32_e32 v72, 0xf3, v76
	v_lshlrev_b32_sdwa v66, v66, v70 dst_sel:DWORD dst_unused:UNUSED_PAD src0_sel:DWORD src1_sel:BYTE_0
	s_mov_b32 s6, 0x8889
	global_load_dwordx4 v[82:85], v66, s[8:9] offset:448
	global_load_dwordx4 v[86:89], v66, s[8:9] offset:432
	v_mul_u32_u24_sdwa v66, v72, s6 dst_sel:DWORD dst_unused:UNUSED_PAD src0_sel:WORD_0 src1_sel:DWORD
	v_lshrrev_b32_e32 v66, 20, v66
	v_mul_lo_u16_e32 v66, 30, v66
	v_sub_u16_e32 v112, v72, v66
	v_lshlrev_b32_e32 v66, 5, v112
	global_load_dwordx4 v[90:93], v66, s[8:9] offset:432
	global_load_dwordx4 v[94:97], v66, s[8:9] offset:448
	v_mov_b32_e32 v66, 3
	v_mul_u32_u24_e32 v48, 0x2d0, v48
	v_mul_u32_u24_e32 v67, 0x2d0, v67
	;; [unrolled: 1-line block ×3, first 2 shown]
	v_lshlrev_b32_sdwa v49, v66, v49 dst_sel:DWORD dst_unused:UNUSED_PAD src0_sel:DWORD src1_sel:BYTE_0
	v_lshlrev_b32_sdwa v68, v66, v68 dst_sel:DWORD dst_unused:UNUSED_PAD src0_sel:DWORD src1_sel:BYTE_0
	;; [unrolled: 1-line block ×3, first 2 shown]
	v_add3_u32 v75, 0, v48, v49
	v_add3_u32 v71, 0, v67, v68
	;; [unrolled: 1-line block ×3, first 2 shown]
	s_mov_b32 s6, 0xe8584caa
	s_mov_b32 s7, 0xbfebb67a
	;; [unrolled: 1-line block ×4, first 2 shown]
	s_waitcnt vmcnt(0) lgkmcnt(0)
	s_barrier
	v_mul_f64 v[66:67], v[30:31], v[56:57]
	v_mul_f64 v[48:49], v[10:11], v[60:61]
	;; [unrolled: 1-line block ×7, first 2 shown]
	v_fma_f64 v[64:65], v[2:3], v[58:59], v[48:49]
	v_fma_f64 v[66:67], v[22:23], v[54:55], v[66:67]
	v_mul_f64 v[80:81], v[24:25], v[80:81]
	v_fma_f64 v[68:69], v[10:11], v[58:59], -v[60:61]
	v_fma_f64 v[48:49], v[30:31], v[54:55], -v[56:57]
	v_mul_f64 v[106:107], v[20:21], v[84:85]
	v_mul_f64 v[104:105], v[28:29], v[88:89]
	;; [unrolled: 1-line block ×3, first 2 shown]
	v_fma_f64 v[58:59], v[16:17], v[62:63], v[98:99]
	v_fma_f64 v[60:61], v[24:25], v[78:79], v[102:103]
	v_mul_f64 v[84:85], v[46:47], v[84:85]
	v_mul_f64 v[108:109], v[36:37], v[92:93]
	;; [unrolled: 1-line block ×5, first 2 shown]
	v_fma_f64 v[54:55], v[28:29], v[86:87], -v[88:89]
	v_fma_f64 v[30:31], v[18:19], v[86:87], v[104:105]
	v_fma_f64 v[46:47], v[46:47], v[82:83], v[106:107]
	v_add_f64 v[16:17], v[64:65], v[66:67]
	v_fma_f64 v[28:29], v[42:43], v[90:91], v[108:109]
	v_fma_f64 v[38:39], v[38:39], v[94:95], v[110:111]
	v_fma_f64 v[62:63], v[26:27], v[62:63], -v[100:101]
	v_fma_f64 v[10:11], v[32:33], v[78:79], -v[80:81]
	;; [unrolled: 1-line block ×4, first 2 shown]
	v_add_f64 v[22:23], v[58:59], v[60:61]
	v_fma_f64 v[24:25], v[20:21], v[82:83], -v[84:85]
	v_add_f64 v[36:37], v[30:31], v[46:47]
	v_add_f64 v[80:81], v[28:29], v[38:39]
	;; [unrolled: 1-line block ×3, first 2 shown]
	v_add_f64 v[18:19], v[68:69], -v[48:49]
	v_fma_f64 v[4:5], v[16:17], -0.5, v[4:5]
	v_add_f64 v[20:21], v[6:7], v[58:59]
	v_add_f64 v[34:35], v[62:63], -v[10:11]
	v_add_f64 v[32:33], v[0:1], v[30:31]
	v_add_f64 v[78:79], v[40:41], v[28:29]
	v_add_f64 v[82:83], v[56:57], -v[26:27]
	v_fma_f64 v[6:7], v[22:23], -0.5, v[6:7]
	v_fma_f64 v[22:23], v[80:81], -0.5, v[40:41]
	v_add_f64 v[42:43], v[54:55], -v[24:25]
	v_fma_f64 v[0:1], v[36:37], -0.5, v[0:1]
	v_add_f64 v[2:3], v[2:3], v[66:67]
	v_fma_f64 v[40:41], v[18:19], s[6:7], v[4:5]
	v_add_f64 v[16:17], v[20:21], v[60:61]
	v_add_f64 v[20:21], v[32:33], v[46:47]
	;; [unrolled: 1-line block ×3, first 2 shown]
	v_fma_f64 v[4:5], v[18:19], s[10:11], v[4:5]
	v_fma_f64 v[18:19], v[34:35], s[6:7], v[6:7]
	;; [unrolled: 1-line block ×7, first 2 shown]
	ds_write2_b64 v75, v[2:3], v[40:41] offset1:30
	ds_write_b64 v75, v[4:5] offset:480
	ds_write2_b64 v71, v[16:17], v[18:19] offset1:30
	ds_write_b64 v71, v[6:7] offset:480
	;; [unrolled: 2-line block ×3, first 2 shown]
	v_lshl_add_u32 v40, v112, 3, 0
	s_and_saveexec_b64 s[6:7], s[2:3]
	s_cbranch_execz .LBB0_25
; %bb.24:
	v_add_u32_e32 v0, 0x1000, v40
	ds_write2_b64 v0, v[32:33], v[36:37] offset0:208 offset1:238
	ds_write_b64 v40, v[34:35] offset:6240
.LBB0_25:
	s_or_b64 exec, exec, s[6:7]
	v_add_u32_e32 v16, 0x1000, v77
	s_waitcnt lgkmcnt(0)
	s_barrier
	v_add_u32_e32 v4, 0x400, v77
	ds_read2_b64 v[20:23], v16 offset0:28 offset1:109
	v_add_u32_e32 v16, 0x800, v77
	ds_read2_b64 v[0:3], v77 offset1:81
	ds_read2_b64 v[4:7], v4 offset0:34 offset1:142
	ds_read2_b64 v[16:19], v16 offset0:95 offset1:176
	ds_read_b64 v[42:43], v77 offset:5616
	s_and_saveexec_b64 s[6:7], s[2:3]
	s_cbranch_execz .LBB0_27
; %bb.26:
	ds_read_b64 v[32:33], v77 offset:1944
	ds_read_b64 v[36:37], v77 offset:4104
	;; [unrolled: 1-line block ×3, first 2 shown]
.LBB0_27:
	s_or_b64 exec, exec, s[6:7]
	v_add_f64 v[78:79], v[68:69], v[48:49]
	v_add_f64 v[68:69], v[12:13], v[68:69]
	v_add_f64 v[64:65], v[64:65], -v[66:67]
	v_add_f64 v[66:67], v[62:63], v[10:11]
	v_add_f64 v[58:59], v[58:59], -v[60:61]
	;; [unrolled: 2-line block ×3, first 2 shown]
	v_add_f64 v[46:47], v[44:45], v[56:57]
	v_fma_f64 v[12:13], v[78:79], -0.5, v[12:13]
	v_add_f64 v[78:79], v[56:57], v[26:27]
	v_add_f64 v[28:29], v[28:29], -v[38:39]
	v_add_f64 v[62:63], v[14:15], v[62:63]
	v_fma_f64 v[14:15], v[66:67], -0.5, v[14:15]
	v_add_f64 v[54:55], v[8:9], v[54:55]
	v_fma_f64 v[8:9], v[60:61], -0.5, v[8:9]
	s_mov_b32 s6, 0xe8584caa
	s_mov_b32 s7, 0x3febb67a
	v_fma_f64 v[44:45], v[78:79], -0.5, v[44:45]
	s_mov_b32 s11, 0xbfebb67a
	s_mov_b32 s10, s6
	v_add_f64 v[48:49], v[68:69], v[48:49]
	v_fma_f64 v[66:67], v[64:65], s[6:7], v[12:13]
	v_add_f64 v[38:39], v[46:47], v[26:27]
	v_fma_f64 v[12:13], v[64:65], s[10:11], v[12:13]
	;; [unrolled: 2-line block ×3, first 2 shown]
	v_fma_f64 v[44:45], v[28:29], s[10:11], v[44:45]
	v_fma_f64 v[56:57], v[58:59], s[6:7], v[14:15]
	;; [unrolled: 1-line block ×3, first 2 shown]
	v_add_f64 v[24:25], v[54:55], v[24:25]
	v_fma_f64 v[54:55], v[30:31], s[6:7], v[8:9]
	v_fma_f64 v[8:9], v[30:31], s[10:11], v[8:9]
	s_waitcnt lgkmcnt(0)
	s_barrier
	ds_write2_b64 v75, v[48:49], v[66:67] offset1:30
	ds_write_b64 v75, v[12:13] offset:480
	ds_write2_b64 v71, v[10:11], v[56:57] offset1:30
	ds_write_b64 v71, v[14:15] offset:480
	;; [unrolled: 2-line block ×3, first 2 shown]
	s_and_saveexec_b64 s[6:7], s[2:3]
	s_cbranch_execz .LBB0_29
; %bb.28:
	v_add_u32_e32 v8, 0x1000, v40
	ds_write2_b64 v8, v[38:39], v[46:47] offset0:208 offset1:238
	ds_write_b64 v40, v[44:45] offset:6240
.LBB0_29:
	s_or_b64 exec, exec, s[6:7]
	v_add_u32_e32 v24, 0x1000, v77
	s_waitcnt lgkmcnt(0)
	s_barrier
	v_add_u32_e32 v8, 0x400, v77
	ds_read2_b64 v[28:31], v24 offset0:28 offset1:109
	v_add_u32_e32 v24, 0x800, v77
	ds_read2_b64 v[12:15], v77 offset1:81
	ds_read2_b64 v[8:11], v8 offset0:34 offset1:142
	ds_read2_b64 v[24:27], v24 offset0:95 offset1:176
	ds_read_b64 v[48:49], v77 offset:5616
	s_and_saveexec_b64 s[6:7], s[2:3]
	s_cbranch_execz .LBB0_31
; %bb.30:
	ds_read_b64 v[38:39], v77 offset:1944
	ds_read_b64 v[46:47], v77 offset:4104
	;; [unrolled: 1-line block ×3, first 2 shown]
.LBB0_31:
	s_or_b64 exec, exec, s[6:7]
	v_lshlrev_b32_e32 v62, 1, v76
	v_mov_b32_e32 v63, 0
	v_lshlrev_b64 v[40:41], 4, v[62:63]
	v_mov_b32_e32 v64, s9
	v_add_co_u32_e32 v40, vcc, s8, v40
	v_addc_co_u32_e32 v41, vcc, v64, v41, vcc
	v_add_u32_e32 v62, -9, v76
	v_cmp_gt_u32_e32 vcc, 9, v76
	v_cndmask_b32_e32 v68, v62, v73, vcc
	v_lshlrev_b32_e32 v62, 1, v68
	v_lshlrev_b64 v[62:63], 4, v[62:63]
	s_movk_i32 s6, 0xb7
	v_add_co_u32_e32 v66, vcc, s8, v62
	v_addc_co_u32_e32 v67, vcc, v64, v63, vcc
	global_load_dwordx4 v[54:57], v[40:41], off offset:1408
	global_load_dwordx4 v[58:61], v[40:41], off offset:1392
	;; [unrolled: 1-line block ×4, first 2 shown]
	v_mul_lo_u16_sdwa v66, v74, s6 dst_sel:DWORD dst_unused:UNUSED_PAD src0_sel:BYTE_0 src1_sel:DWORD
	v_lshrrev_b16_e32 v66, 14, v66
	v_mul_lo_u16_e32 v67, 0x5a, v66
	v_sub_u16_e32 v67, v74, v67
	v_mov_b32_e32 v69, 5
	v_lshlrev_b32_sdwa v69, v69, v67 dst_sel:DWORD dst_unused:UNUSED_PAD src0_sel:DWORD src1_sel:BYTE_0
	s_movk_i32 s6, 0x2d83
	global_load_dwordx4 v[83:86], v69, s[8:9] offset:1408
	global_load_dwordx4 v[87:90], v69, s[8:9] offset:1392
	v_mul_u32_u24_sdwa v69, v72, s6 dst_sel:DWORD dst_unused:UNUSED_PAD src0_sel:WORD_0 src1_sel:DWORD
	v_lshrrev_b32_e32 v69, 20, v69
	v_mul_lo_u16_e32 v69, 0x5a, v69
	v_sub_u16_e32 v111, v72, v69
	v_lshlrev_b32_e32 v69, 5, v111
	global_load_dwordx4 v[91:94], v69, s[8:9] offset:1392
	global_load_dwordx4 v[95:98], v69, s[8:9] offset:1408
	v_mov_b32_e32 v69, 0x870
	v_mov_b32_e32 v70, 3
	v_cmp_lt_u32_e32 vcc, 8, v76
	v_cndmask_b32_e32 v69, 0, v69, vcc
	v_lshlrev_b32_e32 v68, 3, v68
	v_mul_u32_u24_e32 v66, 0x870, v66
	v_lshlrev_b32_sdwa v67, v70, v67 dst_sel:DWORD dst_unused:UNUSED_PAD src0_sel:DWORD src1_sel:BYTE_0
	v_add3_u32 v75, 0, v69, v68
	v_add3_u32 v78, 0, v66, v67
	s_mov_b32 s6, 0xe8584caa
	s_mov_b32 s7, 0xbfebb67a
	;; [unrolled: 1-line block ×4, first 2 shown]
	s_waitcnt vmcnt(0) lgkmcnt(0)
	s_barrier
	v_mul_f64 v[68:69], v[28:29], v[56:57]
	v_mul_f64 v[66:67], v[10:11], v[60:61]
	;; [unrolled: 1-line block ×8, first 2 shown]
	v_fma_f64 v[68:69], v[20:21], v[54:55], v[68:69]
	v_mul_f64 v[105:106], v[48:49], v[85:86]
	v_mul_f64 v[103:104], v[26:27], v[89:90]
	v_fma_f64 v[66:67], v[6:7], v[58:59], v[66:67]
	v_mul_f64 v[89:90], v[18:19], v[89:90]
	v_fma_f64 v[70:71], v[10:11], v[58:59], -v[60:61]
	v_fma_f64 v[60:61], v[16:17], v[62:63], v[99:100]
	v_mul_f64 v[107:108], v[46:47], v[93:94]
	v_mul_f64 v[93:94], v[36:37], v[93:94]
	;; [unrolled: 1-line block ×4, first 2 shown]
	v_fma_f64 v[64:65], v[24:25], v[62:63], -v[64:65]
	v_fma_f64 v[62:63], v[22:23], v[79:80], v[101:102]
	v_fma_f64 v[10:11], v[30:31], v[79:80], -v[81:82]
	v_mul_f64 v[85:86], v[42:43], v[85:86]
	v_fma_f64 v[30:31], v[36:37], v[91:92], v[107:108]
	v_fma_f64 v[58:59], v[46:47], v[91:92], -v[93:94]
	v_fma_f64 v[46:47], v[34:35], v[95:96], v[109:110]
	v_fma_f64 v[54:55], v[28:29], v[54:55], -v[56:57]
	v_fma_f64 v[28:29], v[18:19], v[87:88], v[103:104]
	v_fma_f64 v[42:43], v[42:43], v[83:84], v[105:106]
	v_add_f64 v[16:17], v[66:67], v[68:69]
	v_fma_f64 v[56:57], v[26:27], v[87:88], -v[89:90]
	v_fma_f64 v[26:27], v[44:45], v[95:96], -v[97:98]
	v_add_f64 v[22:23], v[60:61], v[62:63]
	v_add_f64 v[81:82], v[30:31], v[46:47]
	v_fma_f64 v[24:25], v[48:49], v[83:84], -v[85:86]
	v_add_f64 v[6:7], v[0:1], v[66:67]
	v_add_f64 v[44:45], v[28:29], v[42:43]
	v_add_f64 v[18:19], v[70:71], -v[54:55]
	v_fma_f64 v[0:1], v[16:17], -0.5, v[0:1]
	v_add_f64 v[20:21], v[2:3], v[60:61]
	v_add_f64 v[34:35], v[64:65], -v[10:11]
	v_add_f64 v[36:37], v[4:5], v[28:29]
	v_add_f64 v[79:80], v[32:33], v[30:31]
	v_add_f64 v[83:84], v[58:59], -v[26:27]
	v_fma_f64 v[2:3], v[22:23], -0.5, v[2:3]
	v_fma_f64 v[22:23], v[81:82], -0.5, v[32:33]
	v_add_f64 v[48:49], v[56:57], -v[24:25]
	v_fma_f64 v[4:5], v[44:45], -0.5, v[4:5]
	v_add_f64 v[6:7], v[6:7], v[68:69]
	v_fma_f64 v[44:45], v[18:19], s[6:7], v[0:1]
	v_add_f64 v[16:17], v[20:21], v[62:63]
	v_add_f64 v[20:21], v[36:37], v[42:43]
	;; [unrolled: 1-line block ×3, first 2 shown]
	v_fma_f64 v[0:1], v[18:19], s[10:11], v[0:1]
	v_fma_f64 v[18:19], v[34:35], s[6:7], v[2:3]
	v_fma_f64 v[2:3], v[34:35], s[10:11], v[2:3]
	v_fma_f64 v[36:37], v[83:84], s[6:7], v[22:23]
	v_fma_f64 v[34:35], v[83:84], s[10:11], v[22:23]
	v_fma_f64 v[79:80], v[48:49], s[6:7], v[4:5]
	v_fma_f64 v[4:5], v[48:49], s[10:11], v[4:5]
	ds_write2_b64 v77, v[6:7], v[44:45] offset1:90
	ds_write_b64 v77, v[0:1] offset:1440
	ds_write2_b64 v75, v[16:17], v[18:19] offset1:90
	ds_write_b64 v75, v[2:3] offset:1440
	;; [unrolled: 2-line block ×3, first 2 shown]
	v_lshl_add_u32 v79, v111, 3, 0
	s_and_saveexec_b64 s[6:7], s[2:3]
	s_cbranch_execz .LBB0_33
; %bb.32:
	v_add_u32_e32 v0, 0x1000, v79
	ds_write2_b64 v0, v[32:33], v[36:37] offset0:28 offset1:118
	ds_write_b64 v79, v[34:35] offset:5760
.LBB0_33:
	s_or_b64 exec, exec, s[6:7]
	v_add_u32_e32 v16, 0x1000, v77
	s_waitcnt lgkmcnt(0)
	s_barrier
	v_add_u32_e32 v0, 0x400, v77
	ds_read2_b64 v[20:23], v16 offset0:28 offset1:109
	v_add_u32_e32 v16, 0x800, v77
	ds_read2_b64 v[4:7], v77 offset1:81
	ds_read2_b64 v[0:3], v0 offset0:34 offset1:142
	ds_read2_b64 v[16:19], v16 offset0:95 offset1:176
	ds_read_b64 v[48:49], v77 offset:5616
	s_and_saveexec_b64 s[6:7], s[2:3]
	s_cbranch_execz .LBB0_35
; %bb.34:
	ds_read_b64 v[32:33], v77 offset:1944
	ds_read_b64 v[36:37], v77 offset:4104
	;; [unrolled: 1-line block ×3, first 2 shown]
.LBB0_35:
	s_or_b64 exec, exec, s[6:7]
	v_add_f64 v[44:45], v[70:71], v[54:55]
	v_add_f64 v[70:71], v[12:13], v[70:71]
	v_add_f64 v[66:67], v[66:67], -v[68:69]
	v_add_f64 v[68:69], v[64:65], v[10:11]
	v_add_f64 v[60:61], v[60:61], -v[62:63]
	;; [unrolled: 2-line block ×3, first 2 shown]
	v_add_f64 v[42:43], v[38:39], v[58:59]
	v_fma_f64 v[12:13], v[44:45], -0.5, v[12:13]
	v_add_f64 v[44:45], v[14:15], v[64:65]
	v_add_f64 v[64:65], v[58:59], v[26:27]
	v_add_f64 v[30:31], v[30:31], -v[46:47]
	v_fma_f64 v[14:15], v[68:69], -0.5, v[14:15]
	v_add_f64 v[56:57], v[8:9], v[56:57]
	v_fma_f64 v[8:9], v[62:63], -0.5, v[8:9]
	s_mov_b32 s6, 0xe8584caa
	s_mov_b32 s7, 0x3febb67a
	;; [unrolled: 1-line block ×3, first 2 shown]
	v_fma_f64 v[58:59], v[64:65], -0.5, v[38:39]
	s_mov_b32 s10, s6
	v_add_f64 v[54:55], v[70:71], v[54:55]
	v_fma_f64 v[68:69], v[66:67], s[6:7], v[12:13]
	v_add_f64 v[10:11], v[44:45], v[10:11]
	v_add_f64 v[38:39], v[42:43], v[26:27]
	v_fma_f64 v[12:13], v[66:67], s[10:11], v[12:13]
	v_fma_f64 v[62:63], v[60:61], s[6:7], v[14:15]
	;; [unrolled: 1-line block ×5, first 2 shown]
	v_add_f64 v[24:25], v[56:57], v[24:25]
	v_fma_f64 v[56:57], v[28:29], s[6:7], v[8:9]
	v_fma_f64 v[8:9], v[28:29], s[10:11], v[8:9]
	s_waitcnt lgkmcnt(0)
	s_barrier
	ds_write2_b64 v77, v[54:55], v[68:69] offset1:90
	ds_write_b64 v77, v[12:13] offset:1440
	ds_write2_b64 v75, v[10:11], v[62:63] offset1:90
	ds_write_b64 v75, v[14:15] offset:1440
	;; [unrolled: 2-line block ×3, first 2 shown]
	s_and_saveexec_b64 s[6:7], s[2:3]
	s_cbranch_execz .LBB0_37
; %bb.36:
	v_add_u32_e32 v8, 0x1000, v79
	ds_write2_b64 v8, v[38:39], v[46:47] offset0:28 offset1:118
	ds_write_b64 v79, v[44:45] offset:5760
.LBB0_37:
	s_or_b64 exec, exec, s[6:7]
	v_add_u32_e32 v24, 0x1000, v77
	s_waitcnt lgkmcnt(0)
	s_barrier
	v_add_u32_e32 v8, 0x400, v77
	ds_read2_b64 v[28:31], v24 offset0:28 offset1:109
	v_add_u32_e32 v24, 0x800, v77
	ds_read2_b64 v[12:15], v77 offset1:81
	ds_read2_b64 v[8:11], v8 offset0:34 offset1:142
	ds_read2_b64 v[24:27], v24 offset0:95 offset1:176
	ds_read_b64 v[54:55], v77 offset:5616
	s_and_saveexec_b64 s[6:7], s[2:3]
	s_cbranch_execz .LBB0_39
; %bb.38:
	ds_read_b64 v[38:39], v77 offset:1944
	ds_read_b64 v[46:47], v77 offset:4104
	;; [unrolled: 1-line block ×3, first 2 shown]
.LBB0_39:
	s_or_b64 exec, exec, s[6:7]
	s_and_saveexec_b64 s[6:7], s[0:1]
	s_cbranch_execz .LBB0_42
; %bb.40:
	v_lshlrev_b32_e32 v42, 1, v74
	v_mov_b32_e32 v43, 0
	v_lshlrev_b64 v[56:57], 4, v[42:43]
	v_mov_b32_e32 v58, s9
	v_add_co_u32_e32 v42, vcc, s8, v56
	v_addc_co_u32_e32 v79, vcc, v58, v57, vcc
	v_add_co_u32_e32 v74, vcc, 0x10b0, v42
	v_addc_co_u32_e32 v75, vcc, 0, v79, vcc
	v_add_co_u32_e32 v85, vcc, 0x1000, v42
	v_lshlrev_b32_e32 v42, 1, v73
	v_lshlrev_b64 v[56:57], 4, v[42:43]
	s_movk_i32 s6, 0x10b0
	v_add_co_u32_e64 v42, s[0:1], s8, v56
	v_addc_co_u32_e64 v66, s[0:1], v58, v57, s[0:1]
	v_add_co_u32_e64 v77, s[0:1], s6, v42
	v_addc_co_u32_e64 v78, s[0:1], 0, v66, s[0:1]
	v_add_co_u32_e64 v64, s[0:1], s6, v40
	s_movk_i32 s10, 0x1000
	v_addc_co_u32_e64 v65, s[0:1], 0, v41, s[0:1]
	v_add_co_u32_e64 v40, s[0:1], s10, v40
	v_addc_co_u32_e64 v41, s[0:1], 0, v41, s[0:1]
	global_load_dwordx4 v[56:59], v[40:41], off offset:176
	global_load_dwordx4 v[60:63], v[64:65], off offset:16
	v_add_co_u32_e64 v40, s[0:1], s10, v42
	v_addc_co_u32_e64 v41, s[0:1], 0, v66, s[0:1]
	v_addc_co_u32_e32 v86, vcc, 0, v79, vcc
	global_load_dwordx4 v[64:67], v[40:41], off offset:176
	global_load_dwordx4 v[68:71], v[77:78], off offset:16
	s_nop 0
	global_load_dwordx4 v[77:80], v[85:86], off offset:176
	global_load_dwordx4 v[81:84], v[74:75], off offset:16
	v_mul_lo_u32 v42, s5, v52
	v_mul_lo_u32 v53, s4, v53
	v_mad_u64_u32 v[40:41], s[0:1], s4, v52, 0
	s_mov_b32 s4, 0xe8584caa
	s_mov_b32 s5, 0xbfebb67a
	v_add3_u32 v41, v41, v53, v42
	s_mov_b32 s7, 0x3febb67a
	s_mov_b32 s6, s4
	;; [unrolled: 1-line block ×3, first 2 shown]
	s_movk_i32 s11, 0x2000
	s_movk_i32 s1, 0x10e
	s_waitcnt vmcnt(5)
	v_mul_f64 v[52:53], v[2:3], v[58:59]
	s_waitcnt vmcnt(4)
	v_mul_f64 v[73:74], v[20:21], v[62:63]
	s_waitcnt lgkmcnt(4)
	v_mul_f64 v[62:63], v[28:29], v[62:63]
	s_waitcnt lgkmcnt(2)
	v_mul_f64 v[58:59], v[10:11], v[58:59]
	s_waitcnt vmcnt(3)
	v_mul_f64 v[85:86], v[16:17], v[66:67]
	s_waitcnt vmcnt(2)
	v_mul_f64 v[87:88], v[22:23], v[70:71]
	s_waitcnt lgkmcnt(1)
	v_mul_f64 v[66:67], v[24:25], v[66:67]
	v_mul_f64 v[70:71], v[30:31], v[70:71]
	s_waitcnt vmcnt(1)
	v_mul_f64 v[89:90], v[18:19], v[79:80]
	s_waitcnt vmcnt(0)
	v_mul_f64 v[91:92], v[48:49], v[83:84]
	v_mul_f64 v[79:80], v[26:27], v[79:80]
	s_waitcnt lgkmcnt(0)
	v_mul_f64 v[83:84], v[54:55], v[83:84]
	v_fma_f64 v[10:11], v[10:11], v[56:57], -v[52:53]
	v_fma_f64 v[28:29], v[28:29], v[60:61], -v[73:74]
	v_fma_f64 v[60:61], v[20:21], v[60:61], v[62:63]
	v_fma_f64 v[20:21], v[24:25], v[64:65], -v[85:86]
	v_fma_f64 v[24:25], v[30:31], v[68:69], -v[87:88]
	v_fma_f64 v[16:17], v[16:17], v[64:65], v[66:67]
	v_fma_f64 v[22:23], v[22:23], v[68:69], v[70:71]
	v_fma_f64 v[26:27], v[26:27], v[77:78], -v[89:90]
	v_fma_f64 v[30:31], v[54:55], v[81:82], -v[91:92]
	v_fma_f64 v[18:19], v[18:19], v[77:78], v[79:80]
	v_fma_f64 v[48:49], v[48:49], v[81:82], v[83:84]
	;; [unrolled: 1-line block ×3, first 2 shown]
	v_add_f64 v[52:53], v[10:11], v[28:29]
	v_add_f64 v[56:57], v[12:13], v[10:11]
	;; [unrolled: 1-line block ×6, first 2 shown]
	v_add_f64 v[81:82], v[26:27], -v[30:31]
	v_add_f64 v[26:27], v[18:19], v[48:49]
	v_add_f64 v[54:55], v[2:3], -v[60:61]
	v_add_f64 v[62:63], v[10:11], -v[28:29]
	v_add_f64 v[58:59], v[2:3], v[60:61]
	v_add_f64 v[66:67], v[16:17], -v[22:23]
	v_add_f64 v[68:69], v[14:15], v[20:21]
	;; [unrolled: 2-line block ×4, first 2 shown]
	v_fma_f64 v[52:53], v[52:53], -0.5, v[12:13]
	v_add_f64 v[10:11], v[56:57], v[28:29]
	v_fma_f64 v[28:29], v[64:65], -0.5, v[14:15]
	v_fma_f64 v[56:57], v[70:71], -0.5, v[6:7]
	;; [unrolled: 1-line block ×3, first 2 shown]
	v_add_f64 v[2:3], v[4:5], v[2:3]
	v_fma_f64 v[8:9], v[73:74], -0.5, v[8:9]
	v_fma_f64 v[83:84], v[58:59], -0.5, v[4:5]
	v_add_f64 v[14:15], v[68:69], v[24:25]
	v_add_f64 v[12:13], v[16:17], v[22:23]
	;; [unrolled: 1-line block ×4, first 2 shown]
	v_fma_f64 v[18:19], v[54:55], s[4:5], v[52:53]
	v_fma_f64 v[22:23], v[54:55], s[6:7], v[52:53]
	;; [unrolled: 1-line block ×8, first 2 shown]
	v_mul_hi_u32 v0, v76, s0
	v_fma_f64 v[54:55], v[77:78], s[4:5], v[8:9]
	v_fma_f64 v[58:59], v[77:78], s[6:7], v[8:9]
	v_add_f64 v[8:9], v[2:3], v[60:61]
	v_lshrrev_b32_e32 v0, 8, v0
	v_mul_u32_u24_e32 v0, 0x10e, v0
	v_sub_u32_e32 v42, v76, v0
	v_lshlrev_b64 v[0:1], 4, v[40:41]
	v_mov_b32_e32 v2, s15
	v_add_co_u32_e32 v3, vcc, s14, v0
	v_fma_f64 v[20:21], v[62:63], s[4:5], v[83:84]
	v_addc_co_u32_e32 v40, vcc, v2, v1, vcc
	v_lshlrev_b64 v[0:1], 4, v[50:51]
	v_fma_f64 v[16:17], v[62:63], s[6:7], v[83:84]
	v_add_co_u32_e32 v2, vcc, v3, v0
	v_addc_co_u32_e32 v3, vcc, v40, v1, vcc
	v_lshlrev_b32_e32 v0, 4, v42
	v_add_co_u32_e32 v0, vcc, v2, v0
	v_addc_co_u32_e32 v1, vcc, 0, v3, vcc
	global_store_dwordx4 v[0:1], v[8:11], off
	s_nop 0
	v_add_co_u32_e32 v8, vcc, s10, v0
	v_addc_co_u32_e32 v9, vcc, 0, v1, vcc
	global_store_dwordx4 v[8:9], v[20:23], off offset:224
	v_add_u32_e32 v8, 0x51, v76
	v_mul_hi_u32 v9, v8, s0
	v_add_co_u32_e32 v0, vcc, s11, v0
	v_addc_co_u32_e32 v1, vcc, 0, v1, vcc
	global_store_dwordx4 v[0:1], v[16:19], off offset:448
	v_lshrrev_b32_e32 v0, 8, v9
	v_mul_u32_u24_e32 v1, 0x10e, v0
	v_sub_u32_e32 v1, v8, v1
	s_movk_i32 s11, 0x32a
	v_mad_u32_u24 v42, v0, s11, v1
	v_lshlrev_b64 v[0:1], 4, v[42:43]
	v_add_u32_e32 v8, 0xa2, v76
	v_add_co_u32_e32 v0, vcc, v2, v0
	v_addc_co_u32_e32 v1, vcc, v3, v1, vcc
	global_store_dwordx4 v[0:1], v[12:15], off
	v_add_u32_e32 v0, 0x10e, v42
	v_mov_b32_e32 v1, v43
	v_lshlrev_b64 v[0:1], 4, v[0:1]
	v_add_u32_e32 v42, 0x21c, v42
	v_add_co_u32_e32 v0, vcc, v2, v0
	v_addc_co_u32_e32 v1, vcc, v3, v1, vcc
	global_store_dwordx4 v[0:1], v[28:31], off
	v_lshlrev_b64 v[0:1], 4, v[42:43]
	v_mul_hi_u32 v9, v8, s0
	v_add_co_u32_e32 v0, vcc, v2, v0
	v_addc_co_u32_e32 v1, vcc, v3, v1, vcc
	global_store_dwordx4 v[0:1], v[24:27], off
	v_lshrrev_b32_e32 v0, 8, v9
	v_mul_u32_u24_e32 v1, 0x10e, v0
	v_sub_u32_e32 v1, v8, v1
	v_mad_u32_u24 v42, v0, s11, v1
	v_lshlrev_b64 v[0:1], 4, v[42:43]
	v_add_co_u32_e32 v0, vcc, v2, v0
	v_addc_co_u32_e32 v1, vcc, v3, v1, vcc
	global_store_dwordx4 v[0:1], v[4:7], off
	v_add_u32_e32 v0, 0x10e, v42
	v_mov_b32_e32 v1, v43
	v_lshlrev_b64 v[0:1], 4, v[0:1]
	v_add_u32_e32 v42, 0x21c, v42
	v_add_co_u32_e32 v0, vcc, v2, v0
	v_addc_co_u32_e32 v1, vcc, v3, v1, vcc
	global_store_dwordx4 v[0:1], v[56:59], off
	v_lshlrev_b64 v[0:1], 4, v[42:43]
	v_add_co_u32_e32 v0, vcc, v2, v0
	v_addc_co_u32_e32 v1, vcc, v3, v1, vcc
	global_store_dwordx4 v[0:1], v[52:55], off
	v_add_u32_e32 v0, 0xf3, v76
	v_cmp_gt_u32_e32 vcc, s1, v0
	s_and_b64 exec, exec, vcc
	s_cbranch_execz .LBB0_42
; %bb.41:
	v_subrev_u32_e32 v1, 27, v76
	v_cndmask_b32_e64 v1, v1, v72, s[2:3]
	v_lshlrev_b32_e32 v42, 1, v1
	v_lshlrev_b64 v[4:5], 4, v[42:43]
	v_mov_b32_e32 v1, s9
	v_add_co_u32_e32 v4, vcc, s8, v4
	v_addc_co_u32_e32 v1, vcc, v1, v5, vcc
	v_add_co_u32_e32 v8, vcc, 0x10b0, v4
	s_mov_b64 s[0:1], vcc
	v_add_co_u32_e32 v4, vcc, s10, v4
	v_addc_co_u32_e32 v5, vcc, 0, v1, vcc
	v_addc_co_u32_e64 v9, vcc, 0, v1, s[0:1]
	global_load_dwordx4 v[4:7], v[4:5], off offset:176
	v_mov_b32_e32 v1, v43
	global_load_dwordx4 v[8:11], v[8:9], off offset:16
	v_lshlrev_b64 v[0:1], 4, v[0:1]
	v_add_u32_e32 v42, 0x201, v76
	v_add_co_u32_e32 v0, vcc, v2, v0
	v_lshlrev_b64 v[24:25], 4, v[42:43]
	v_addc_co_u32_e32 v1, vcc, v3, v1, vcc
	v_add_u32_e32 v42, 0x30f, v76
	v_lshlrev_b64 v[26:27], 4, v[42:43]
	s_waitcnt vmcnt(1)
	v_mul_f64 v[12:13], v[46:47], v[6:7]
	v_mul_f64 v[6:7], v[36:37], v[6:7]
	s_waitcnt vmcnt(0)
	v_mul_f64 v[14:15], v[44:45], v[10:11]
	v_mul_f64 v[10:11], v[34:35], v[10:11]
	v_fma_f64 v[12:13], v[36:37], v[4:5], v[12:13]
	v_fma_f64 v[4:5], v[46:47], v[4:5], -v[6:7]
	v_fma_f64 v[6:7], v[34:35], v[8:9], v[14:15]
	v_fma_f64 v[8:9], v[44:45], v[8:9], -v[10:11]
	v_add_f64 v[16:17], v[32:33], v[12:13]
	v_add_f64 v[20:21], v[38:39], v[4:5]
	;; [unrolled: 1-line block ×4, first 2 shown]
	v_add_f64 v[18:19], v[4:5], -v[8:9]
	v_add_f64 v[22:23], v[12:13], -v[6:7]
	v_add_f64 v[4:5], v[16:17], v[6:7]
	v_add_f64 v[6:7], v[20:21], v[8:9]
	v_fma_f64 v[10:11], v[10:11], -0.5, v[32:33]
	v_fma_f64 v[14:15], v[14:15], -0.5, v[38:39]
	v_add_co_u32_e32 v16, vcc, v2, v24
	v_addc_co_u32_e32 v17, vcc, v3, v25, vcc
	v_add_co_u32_e32 v2, vcc, v2, v26
	v_fma_f64 v[8:9], v[18:19], s[4:5], v[10:11]
	v_fma_f64 v[12:13], v[18:19], s[6:7], v[10:11]
	;; [unrolled: 1-line block ×4, first 2 shown]
	v_addc_co_u32_e32 v3, vcc, v3, v27, vcc
	global_store_dwordx4 v[0:1], v[4:7], off
	global_store_dwordx4 v[16:17], v[8:11], off
	;; [unrolled: 1-line block ×3, first 2 shown]
.LBB0_42:
	s_endpgm
	.section	.rodata,"a",@progbits
	.p2align	6, 0x0
	.amdhsa_kernel fft_rtc_back_len810_factors_3_10_3_3_3_wgs_81_tpt_81_halfLds_dp_op_CI_CI_unitstride_sbrr_dirReg
		.amdhsa_group_segment_fixed_size 0
		.amdhsa_private_segment_fixed_size 0
		.amdhsa_kernarg_size 104
		.amdhsa_user_sgpr_count 6
		.amdhsa_user_sgpr_private_segment_buffer 1
		.amdhsa_user_sgpr_dispatch_ptr 0
		.amdhsa_user_sgpr_queue_ptr 0
		.amdhsa_user_sgpr_kernarg_segment_ptr 1
		.amdhsa_user_sgpr_dispatch_id 0
		.amdhsa_user_sgpr_flat_scratch_init 0
		.amdhsa_user_sgpr_private_segment_size 0
		.amdhsa_uses_dynamic_stack 0
		.amdhsa_system_sgpr_private_segment_wavefront_offset 0
		.amdhsa_system_sgpr_workgroup_id_x 1
		.amdhsa_system_sgpr_workgroup_id_y 0
		.amdhsa_system_sgpr_workgroup_id_z 0
		.amdhsa_system_sgpr_workgroup_info 0
		.amdhsa_system_vgpr_workitem_id 0
		.amdhsa_next_free_vgpr 116
		.amdhsa_next_free_sgpr 28
		.amdhsa_reserve_vcc 1
		.amdhsa_reserve_flat_scratch 0
		.amdhsa_float_round_mode_32 0
		.amdhsa_float_round_mode_16_64 0
		.amdhsa_float_denorm_mode_32 3
		.amdhsa_float_denorm_mode_16_64 3
		.amdhsa_dx10_clamp 1
		.amdhsa_ieee_mode 1
		.amdhsa_fp16_overflow 0
		.amdhsa_exception_fp_ieee_invalid_op 0
		.amdhsa_exception_fp_denorm_src 0
		.amdhsa_exception_fp_ieee_div_zero 0
		.amdhsa_exception_fp_ieee_overflow 0
		.amdhsa_exception_fp_ieee_underflow 0
		.amdhsa_exception_fp_ieee_inexact 0
		.amdhsa_exception_int_div_zero 0
	.end_amdhsa_kernel
	.text
.Lfunc_end0:
	.size	fft_rtc_back_len810_factors_3_10_3_3_3_wgs_81_tpt_81_halfLds_dp_op_CI_CI_unitstride_sbrr_dirReg, .Lfunc_end0-fft_rtc_back_len810_factors_3_10_3_3_3_wgs_81_tpt_81_halfLds_dp_op_CI_CI_unitstride_sbrr_dirReg
                                        ; -- End function
	.section	.AMDGPU.csdata,"",@progbits
; Kernel info:
; codeLenInByte = 8772
; NumSgprs: 32
; NumVgprs: 116
; ScratchSize: 0
; MemoryBound: 1
; FloatMode: 240
; IeeeMode: 1
; LDSByteSize: 0 bytes/workgroup (compile time only)
; SGPRBlocks: 3
; VGPRBlocks: 28
; NumSGPRsForWavesPerEU: 32
; NumVGPRsForWavesPerEU: 116
; Occupancy: 2
; WaveLimiterHint : 1
; COMPUTE_PGM_RSRC2:SCRATCH_EN: 0
; COMPUTE_PGM_RSRC2:USER_SGPR: 6
; COMPUTE_PGM_RSRC2:TRAP_HANDLER: 0
; COMPUTE_PGM_RSRC2:TGID_X_EN: 1
; COMPUTE_PGM_RSRC2:TGID_Y_EN: 0
; COMPUTE_PGM_RSRC2:TGID_Z_EN: 0
; COMPUTE_PGM_RSRC2:TIDIG_COMP_CNT: 0
	.type	__hip_cuid_e81b2d0754c63268,@object ; @__hip_cuid_e81b2d0754c63268
	.section	.bss,"aw",@nobits
	.globl	__hip_cuid_e81b2d0754c63268
__hip_cuid_e81b2d0754c63268:
	.byte	0                               ; 0x0
	.size	__hip_cuid_e81b2d0754c63268, 1

	.ident	"AMD clang version 19.0.0git (https://github.com/RadeonOpenCompute/llvm-project roc-6.4.0 25133 c7fe45cf4b819c5991fe208aaa96edf142730f1d)"
	.section	".note.GNU-stack","",@progbits
	.addrsig
	.addrsig_sym __hip_cuid_e81b2d0754c63268
	.amdgpu_metadata
---
amdhsa.kernels:
  - .args:
      - .actual_access:  read_only
        .address_space:  global
        .offset:         0
        .size:           8
        .value_kind:     global_buffer
      - .offset:         8
        .size:           8
        .value_kind:     by_value
      - .actual_access:  read_only
        .address_space:  global
        .offset:         16
        .size:           8
        .value_kind:     global_buffer
      - .actual_access:  read_only
        .address_space:  global
        .offset:         24
        .size:           8
        .value_kind:     global_buffer
      - .actual_access:  read_only
        .address_space:  global
        .offset:         32
        .size:           8
        .value_kind:     global_buffer
      - .offset:         40
        .size:           8
        .value_kind:     by_value
      - .actual_access:  read_only
        .address_space:  global
        .offset:         48
        .size:           8
        .value_kind:     global_buffer
      - .actual_access:  read_only
        .address_space:  global
        .offset:         56
        .size:           8
        .value_kind:     global_buffer
      - .offset:         64
        .size:           4
        .value_kind:     by_value
      - .actual_access:  read_only
        .address_space:  global
        .offset:         72
        .size:           8
        .value_kind:     global_buffer
      - .actual_access:  read_only
        .address_space:  global
        .offset:         80
        .size:           8
        .value_kind:     global_buffer
      - .actual_access:  read_only
        .address_space:  global
        .offset:         88
        .size:           8
        .value_kind:     global_buffer
      - .actual_access:  write_only
        .address_space:  global
        .offset:         96
        .size:           8
        .value_kind:     global_buffer
    .group_segment_fixed_size: 0
    .kernarg_segment_align: 8
    .kernarg_segment_size: 104
    .language:       OpenCL C
    .language_version:
      - 2
      - 0
    .max_flat_workgroup_size: 81
    .name:           fft_rtc_back_len810_factors_3_10_3_3_3_wgs_81_tpt_81_halfLds_dp_op_CI_CI_unitstride_sbrr_dirReg
    .private_segment_fixed_size: 0
    .sgpr_count:     32
    .sgpr_spill_count: 0
    .symbol:         fft_rtc_back_len810_factors_3_10_3_3_3_wgs_81_tpt_81_halfLds_dp_op_CI_CI_unitstride_sbrr_dirReg.kd
    .uniform_work_group_size: 1
    .uses_dynamic_stack: false
    .vgpr_count:     116
    .vgpr_spill_count: 0
    .wavefront_size: 64
amdhsa.target:   amdgcn-amd-amdhsa--gfx906
amdhsa.version:
  - 1
  - 2
...

	.end_amdgpu_metadata
